;; amdgpu-corpus repo=zjin-lcf/HeCBench kind=compiled arch=gfx1250 opt=O3
	.amdgcn_target "amdgcn-amd-amdhsa--gfx1250"
	.amdhsa_code_object_version 6
	.text
	.protected	_Z13compute_probsPKdS0_Pdiii ; -- Begin function _Z13compute_probsPKdS0_Pdiii
	.globl	_Z13compute_probsPKdS0_Pdiii
	.p2align	8
	.type	_Z13compute_probsPKdS0_Pdiii,@function
_Z13compute_probsPKdS0_Pdiii:           ; @_Z13compute_probsPKdS0_Pdiii
; %bb.0:
	s_clause 0x1
	s_load_b32 s2, s[0:1], 0x34
	s_load_b96 s[4:6], s[0:1], 0x18
	s_bfe_u32 s3, ttmp6, 0x4000c
	s_and_b32 s7, ttmp6, 15
	s_add_co_i32 s3, s3, 1
	s_getreg_b32 s8, hwreg(HW_REG_IB_STS2, 6, 4)
	s_mul_i32 s3, ttmp9, s3
	s_delay_alu instid0(SALU_CYCLE_1) | instskip(SKIP_4) | instid1(SALU_CYCLE_1)
	s_add_co_i32 s7, s7, s3
	s_wait_kmcnt 0x0
	s_and_b32 s2, s2, 0xffff
	s_cmp_eq_u32 s8, 0
	s_cselect_b32 s3, ttmp9, s7
	v_mad_u32 v0, s3, s2, v0
	s_mov_b32 s2, exec_lo
	s_delay_alu instid0(VALU_DEP_1)
	v_cmpx_gt_i32_e64 s4, v0
	s_cbranch_execz .LBB0_17
; %bb.1:
	s_load_b64 s[8:9], s[0:1], 0x10
	v_mul_lo_u32 v0, v0, s5
	s_cmp_gt_i32 s5, 0
	s_cselect_b32 s4, -1, 0
	s_cmp_lt_i32 s5, 1
	s_delay_alu instid0(VALU_DEP_1)
	v_ashrrev_i32_e32 v1, 31, v0
	s_cbranch_scc1 .LBB0_4
; %bb.2:
	v_mov_b64_e32 v[2:3], 0
	s_wait_kmcnt 0x0
	s_delay_alu instid0(VALU_DEP_2)
	v_lshl_add_u64 v[4:5], v[0:1], 3, s[8:9]
	s_mov_b32 s2, s5
.LBB0_3:                                ; =>This Inner Loop Header: Depth=1
	global_store_b64 v[4:5], v[2:3], off
	s_wait_xcnt 0x0
	v_add_nc_u64_e32 v[4:5], 8, v[4:5]
	s_add_co_i32 s2, s2, -1
	s_delay_alu instid0(SALU_CYCLE_1)
	s_cmp_eq_u32 s2, 0
	s_cbranch_scc0 .LBB0_3
.LBB0_4:
	v_cndmask_b32_e64 v8, 0, 1, s4
	s_cmp_lt_i32 s6, 1
	s_cbranch_scc1 .LBB0_14
; %bb.5:
	s_wait_xcnt 0x0
	s_load_b128 s[0:3], s[0:1], 0x0
	s_add_co_i32 s7, s5, -1
	s_lshl_b32 s12, s5, 3
	s_mov_b32 s11, 0
	s_cmp_gt_i32 s5, 1
	s_mov_b32 s10, s11
	s_cselect_b32 s13, -1, 0
	s_mov_b32 s14, s11
                                        ; implicit-def: $vgpr4_vgpr5
	s_wait_kmcnt 0x0
	v_lshl_add_u64 v[2:3], v[0:1], 3, s[0:1]
	s_branch .LBB0_7
.LBB0_6:                                ;   in Loop: Header=BB0_7 Depth=1
	s_delay_alu instid0(VALU_DEP_1)
	v_add_nc_u32_e32 v9, v9, v0
	s_add_co_i32 s14, s14, 1
	s_add_co_i32 s10, s10, s5
	s_cmp_eq_u32 s14, s6
	global_load_b64 v[6:7], v9, s[8:9] scale_offset
	s_wait_loadcnt 0x0
	v_add_f64_e32 v[6:7], 1.0, v[6:7]
	global_store_b64 v9, v[6:7], s[8:9] scale_offset
	s_cbranch_scc1 .LBB0_14
.LBB0_7:                                ; =>This Loop Header: Depth=1
                                        ;     Child Loop BB0_9 Depth 2
                                        ;     Child Loop BB0_13 Depth 2
	s_and_not1_b32 vcc_lo, exec_lo, s4
	s_cbranch_vccnz .LBB0_11
; %bb.8:                                ;   in Loop: Header=BB0_7 Depth=1
	s_delay_alu instid0(VALU_DEP_1)
	v_mov_b64_e32 v[4:5], v[2:3]
	s_lshl_b64 s[0:1], s[10:11], 3
	s_mov_b32 s15, 0
	s_add_nc_u64 s[0:1], s[2:3], s[0:1]
	s_mov_b32 s16, s5
.LBB0_9:                                ;   Parent Loop BB0_7 Depth=1
                                        ; =>  This Inner Loop Header: Depth=2
	global_load_b64 v[6:7], v[4:5], off
	s_load_b64 s[18:19], s[0:1], 0x0
	v_add_nc_u64_e32 v[4:5], 8, v[4:5]
	s_add_co_i32 s16, s16, -1
	s_wait_xcnt 0x0
	s_add_nc_u64 s[0:1], s[0:1], 8
	s_wait_loadcnt 0x0
	s_wait_kmcnt 0x0
	v_add_f64_e32 v[6:7], s[18:19], v[6:7]
	scratch_store_b64 off, v[6:7], s15
	s_wait_xcnt 0x0
	s_add_co_i32 s15, s15, 8
	s_cmp_lg_u32 s16, 0
	s_cbranch_scc1 .LBB0_9
; %bb.10:                               ;   in Loop: Header=BB0_7 Depth=1
	scratch_load_b64 v[4:5], off, s12 offset:-8
.LBB0_11:                               ;   in Loop: Header=BB0_7 Depth=1
	s_wait_xcnt 0x0
	v_mov_b32_e32 v9, s7
	s_and_not1_b32 vcc_lo, exec_lo, s13
	s_cbranch_vccnz .LBB0_6
; %bb.12:                               ;   in Loop: Header=BB0_7 Depth=1
	s_wait_loadcnt 0x0
	v_mov_b64_e32 v[6:7], v[4:5]
	v_mov_b32_e32 v9, s7
	s_mov_b32 s0, 0
	s_mov_b32 s1, 0
.LBB0_13:                               ;   Parent Loop BB0_7 Depth=1
                                        ; =>  This Inner Loop Header: Depth=2
	scratch_load_b64 v[10:11], off, s0
	s_wait_xcnt 0x0
	s_add_co_i32 s0, s0, 8
	s_wait_loadcnt 0x0
	v_cmp_gt_f64_e32 vcc_lo, v[10:11], v[6:7]
	v_cndmask_b32_e64 v9, v9, s1, vcc_lo
	v_dual_cndmask_b32 v7, v7, v11 :: v_dual_cndmask_b32 v6, v6, v10
	s_add_co_i32 s1, s1, 1
	s_delay_alu instid0(SALU_CYCLE_1)
	s_cmp_lg_u32 s7, s1
	s_cbranch_scc1 .LBB0_13
	s_branch .LBB0_6
.LBB0_14:
	s_delay_alu instid0(VALU_DEP_1)
	v_cmp_ne_u32_e32 vcc_lo, 1, v8
	s_cbranch_vccnz .LBB0_17
; %bb.15:
	v_cvt_f64_i32_e32 v[2:3], s6
	s_wait_kmcnt 0x0
	v_lshl_add_u64 v[0:1], v[0:1], 3, s[8:9]
.LBB0_16:                               ; =>This Inner Loop Header: Depth=1
	global_load_b64 v[4:5], v[0:1], off
	s_add_co_i32 s5, s5, -1
	s_delay_alu instid0(SALU_CYCLE_1) | instskip(SKIP_3) | instid1(VALU_DEP_2)
	s_cmp_lg_u32 s5, 0
	s_wait_loadcnt 0x0
	v_div_scale_f64 v[6:7], null, v[2:3], v[2:3], v[4:5]
	v_div_scale_f64 v[12:13], vcc_lo, v[4:5], v[2:3], v[4:5]
	v_rcp_f64_e32 v[8:9], v[6:7]
	v_nop
	s_delay_alu instid0(TRANS32_DEP_1) | instskip(NEXT) | instid1(VALU_DEP_1)
	v_fma_f64 v[10:11], -v[6:7], v[8:9], 1.0
	v_fmac_f64_e32 v[8:9], v[8:9], v[10:11]
	s_delay_alu instid0(VALU_DEP_1) | instskip(NEXT) | instid1(VALU_DEP_1)
	v_fma_f64 v[10:11], -v[6:7], v[8:9], 1.0
	v_fmac_f64_e32 v[8:9], v[8:9], v[10:11]
	s_delay_alu instid0(VALU_DEP_1) | instskip(NEXT) | instid1(VALU_DEP_1)
	v_mul_f64_e32 v[10:11], v[12:13], v[8:9]
	v_fma_f64 v[6:7], -v[6:7], v[10:11], v[12:13]
	s_delay_alu instid0(VALU_DEP_1) | instskip(NEXT) | instid1(VALU_DEP_1)
	v_div_fmas_f64 v[6:7], v[6:7], v[8:9], v[10:11]
	v_div_fixup_f64 v[4:5], v[6:7], v[2:3], v[4:5]
	global_store_b64 v[0:1], v[4:5], off
	s_wait_xcnt 0x0
	v_add_nc_u64_e32 v[0:1], 8, v[0:1]
	s_cbranch_scc1 .LBB0_16
.LBB0_17:
	s_endpgm
	.section	.rodata,"a",@progbits
	.p2align	6, 0x0
	.amdhsa_kernel _Z13compute_probsPKdS0_Pdiii
		.amdhsa_group_segment_fixed_size 0
		.amdhsa_private_segment_fixed_size 176
		.amdhsa_kernarg_size 296
		.amdhsa_user_sgpr_count 2
		.amdhsa_user_sgpr_dispatch_ptr 0
		.amdhsa_user_sgpr_queue_ptr 0
		.amdhsa_user_sgpr_kernarg_segment_ptr 1
		.amdhsa_user_sgpr_dispatch_id 0
		.amdhsa_user_sgpr_kernarg_preload_length 0
		.amdhsa_user_sgpr_kernarg_preload_offset 0
		.amdhsa_user_sgpr_private_segment_size 0
		.amdhsa_wavefront_size32 1
		.amdhsa_uses_dynamic_stack 0
		.amdhsa_enable_private_segment 1
		.amdhsa_system_sgpr_workgroup_id_x 1
		.amdhsa_system_sgpr_workgroup_id_y 0
		.amdhsa_system_sgpr_workgroup_id_z 0
		.amdhsa_system_sgpr_workgroup_info 0
		.amdhsa_system_vgpr_workitem_id 0
		.amdhsa_next_free_vgpr 14
		.amdhsa_next_free_sgpr 20
		.amdhsa_named_barrier_count 0
		.amdhsa_reserve_vcc 1
		.amdhsa_float_round_mode_32 0
		.amdhsa_float_round_mode_16_64 0
		.amdhsa_float_denorm_mode_32 3
		.amdhsa_float_denorm_mode_16_64 3
		.amdhsa_fp16_overflow 0
		.amdhsa_memory_ordered 1
		.amdhsa_forward_progress 1
		.amdhsa_inst_pref_size 6
		.amdhsa_round_robin_scheduling 0
		.amdhsa_exception_fp_ieee_invalid_op 0
		.amdhsa_exception_fp_denorm_src 0
		.amdhsa_exception_fp_ieee_div_zero 0
		.amdhsa_exception_fp_ieee_overflow 0
		.amdhsa_exception_fp_ieee_underflow 0
		.amdhsa_exception_fp_ieee_inexact 0
		.amdhsa_exception_int_div_zero 0
	.end_amdhsa_kernel
	.text
.Lfunc_end0:
	.size	_Z13compute_probsPKdS0_Pdiii, .Lfunc_end0-_Z13compute_probsPKdS0_Pdiii
                                        ; -- End function
	.set _Z13compute_probsPKdS0_Pdiii.num_vgpr, 14
	.set _Z13compute_probsPKdS0_Pdiii.num_agpr, 0
	.set _Z13compute_probsPKdS0_Pdiii.numbered_sgpr, 20
	.set _Z13compute_probsPKdS0_Pdiii.num_named_barrier, 0
	.set _Z13compute_probsPKdS0_Pdiii.private_seg_size, 176
	.set _Z13compute_probsPKdS0_Pdiii.uses_vcc, 1
	.set _Z13compute_probsPKdS0_Pdiii.uses_flat_scratch, 0
	.set _Z13compute_probsPKdS0_Pdiii.has_dyn_sized_stack, 0
	.set _Z13compute_probsPKdS0_Pdiii.has_recursion, 0
	.set _Z13compute_probsPKdS0_Pdiii.has_indirect_call, 0
	.section	.AMDGPU.csdata,"",@progbits
; Kernel info:
; codeLenInByte = 724
; TotalNumSgprs: 22
; NumVgprs: 14
; ScratchSize: 176
; MemoryBound: 0
; FloatMode: 240
; IeeeMode: 1
; LDSByteSize: 0 bytes/workgroup (compile time only)
; SGPRBlocks: 0
; VGPRBlocks: 0
; NumSGPRsForWavesPerEU: 22
; NumVGPRsForWavesPerEU: 14
; NamedBarCnt: 0
; Occupancy: 16
; WaveLimiterHint : 0
; COMPUTE_PGM_RSRC2:SCRATCH_EN: 1
; COMPUTE_PGM_RSRC2:USER_SGPR: 2
; COMPUTE_PGM_RSRC2:TRAP_HANDLER: 0
; COMPUTE_PGM_RSRC2:TGID_X_EN: 1
; COMPUTE_PGM_RSRC2:TGID_Y_EN: 0
; COMPUTE_PGM_RSRC2:TGID_Z_EN: 0
; COMPUTE_PGM_RSRC2:TIDIG_COMP_CNT: 0
	.text
	.protected	_Z25compute_probs_unitStridesPKdS0_Pdiii ; -- Begin function _Z25compute_probs_unitStridesPKdS0_Pdiii
	.globl	_Z25compute_probs_unitStridesPKdS0_Pdiii
	.p2align	8
	.type	_Z25compute_probs_unitStridesPKdS0_Pdiii,@function
_Z25compute_probs_unitStridesPKdS0_Pdiii: ; @_Z25compute_probs_unitStridesPKdS0_Pdiii
; %bb.0:
	s_clause 0x1
	s_load_b32 s2, s[0:1], 0x34
	s_load_b96 s[4:6], s[0:1], 0x18
	s_bfe_u32 s3, ttmp6, 0x4000c
	s_and_b32 s7, ttmp6, 15
	s_add_co_i32 s3, s3, 1
	s_getreg_b32 s8, hwreg(HW_REG_IB_STS2, 6, 4)
	s_mul_i32 s3, ttmp9, s3
	s_delay_alu instid0(SALU_CYCLE_1) | instskip(SKIP_4) | instid1(SALU_CYCLE_1)
	s_add_co_i32 s7, s7, s3
	s_wait_kmcnt 0x0
	s_and_b32 s2, s2, 0xffff
	s_cmp_eq_u32 s8, 0
	s_cselect_b32 s3, ttmp9, s7
	v_mad_u32 v4, s3, s2, v0
	s_mov_b32 s2, exec_lo
	s_delay_alu instid0(VALU_DEP_1)
	v_cmpx_gt_i32_e64 s4, v4
	s_cbranch_execz .LBB1_17
; %bb.1:
	s_load_b64 s[8:9], s[0:1], 0x10
	s_cmp_gt_i32 s5, 0
	s_cselect_b32 s7, -1, 0
	s_cmp_lt_i32 s5, 1
	s_cbranch_scc1 .LBB1_4
; %bb.2:
	v_mov_b64_e32 v[0:1], 0
	v_mov_b32_e32 v2, v4
	s_mov_b32 s2, s5
.LBB1_3:                                ; =>This Inner Loop Header: Depth=1
	s_wait_kmcnt 0x0
	global_store_b64 v2, v[0:1], s[8:9] scale_offset
	s_wait_xcnt 0x0
	v_add_nc_u32_e32 v2, s4, v2
	s_add_co_i32 s2, s2, -1
	s_delay_alu instid0(SALU_CYCLE_1)
	s_cmp_eq_u32 s2, 0
	s_cbranch_scc0 .LBB1_3
.LBB1_4:
	v_cndmask_b32_e64 v5, 0, 1, s7
	s_cmp_lt_i32 s6, 1
	s_cbranch_scc1 .LBB1_14
; %bb.5:
	s_wait_xcnt 0x0
	s_load_b128 s[0:3], s[0:1], 0x0
	s_lshl_b32 s17, s5, 3
	s_add_co_i32 s16, s5, -1
	s_cmp_gt_i32 s5, 1
	s_mov_b32 s11, 0
	s_mov_b32 s10, s6
	s_cselect_b32 s18, -1, 0
	s_lshl_b64 s[12:13], s[10:11], 3
                                        ; implicit-def: $vgpr0_vgpr1
	s_branch .LBB1_7
.LBB1_6:                                ;   in Loop: Header=BB1_7 Depth=1
	s_delay_alu instid0(VALU_DEP_1)
	v_mad_u32 v6, v6, s4, v4
	s_add_co_i32 s11, s11, 1
	s_wait_kmcnt 0x0
	s_add_nc_u64 s[2:3], s[2:3], 8
	s_cmp_eq_u32 s11, s6
	global_load_b64 v[2:3], v6, s[8:9] scale_offset
	s_wait_loadcnt 0x0
	v_add_f64_e32 v[2:3], 1.0, v[2:3]
	global_store_b64 v6, v[2:3], s[8:9] scale_offset
	s_cbranch_scc1 .LBB1_14
.LBB1_7:                                ; =>This Loop Header: Depth=1
                                        ;     Child Loop BB1_9 Depth 2
                                        ;     Child Loop BB1_13 Depth 2
	s_and_not1_b32 vcc_lo, exec_lo, s7
	s_cbranch_vccnz .LBB1_11
; %bb.8:                                ;   in Loop: Header=BB1_7 Depth=1
	v_mov_b32_e32 v0, v4
	s_mov_b32 s10, 0
	s_wait_kmcnt 0x0
	s_mov_b64 s[14:15], s[2:3]
	s_mov_b32 s19, s5
.LBB1_9:                                ;   Parent Loop BB1_7 Depth=1
                                        ; =>  This Inner Loop Header: Depth=2
	global_load_b64 v[2:3], v0, s[0:1] scale_offset
	s_load_b64 s[20:21], s[14:15], 0x0
	s_add_co_i32 s19, s19, -1
	s_wait_xcnt 0x0
	s_add_nc_u64 s[14:15], s[14:15], s[12:13]
	s_wait_loadcnt 0x0
	s_wait_kmcnt 0x0
	v_dual_add_f64 v[2:3], s[20:21], v[2:3] :: v_dual_add_nc_u32 v0, s4, v0
	scratch_store_b64 off, v[2:3], s10
	s_wait_xcnt 0x0
	s_add_co_i32 s10, s10, 8
	s_cmp_lg_u32 s19, 0
	s_cbranch_scc1 .LBB1_9
; %bb.10:                               ;   in Loop: Header=BB1_7 Depth=1
	scratch_load_b64 v[0:1], off, s17 offset:-8
.LBB1_11:                               ;   in Loop: Header=BB1_7 Depth=1
	s_wait_xcnt 0x0
	v_mov_b32_e32 v6, s16
	s_and_not1_b32 vcc_lo, exec_lo, s18
	s_cbranch_vccnz .LBB1_6
; %bb.12:                               ;   in Loop: Header=BB1_7 Depth=1
	s_wait_loadcnt 0x0
	v_mov_b64_e32 v[2:3], v[0:1]
	v_mov_b32_e32 v6, s16
	s_mov_b32 s10, 0
	s_mov_b32 s14, 0
.LBB1_13:                               ;   Parent Loop BB1_7 Depth=1
                                        ; =>  This Inner Loop Header: Depth=2
	scratch_load_b64 v[8:9], off, s10
	s_wait_xcnt 0x0
	s_add_co_i32 s10, s10, 8
	s_wait_loadcnt 0x0
	v_cmp_gt_f64_e32 vcc_lo, v[8:9], v[2:3]
	v_cndmask_b32_e64 v6, v6, s14, vcc_lo
	v_dual_cndmask_b32 v3, v3, v9 :: v_dual_cndmask_b32 v2, v2, v8
	s_add_co_i32 s14, s14, 1
	s_delay_alu instid0(SALU_CYCLE_1)
	s_cmp_lg_u32 s16, s14
	s_cbranch_scc1 .LBB1_13
	s_branch .LBB1_6
.LBB1_14:
	s_delay_alu instid0(VALU_DEP_1)
	v_cmp_ne_u32_e32 vcc_lo, 1, v5
	s_cbranch_vccnz .LBB1_17
; %bb.15:
	v_cvt_f64_i32_e32 v[0:1], s6
.LBB1_16:                               ; =>This Inner Loop Header: Depth=1
	s_wait_kmcnt 0x0
	global_load_b64 v[2:3], v4, s[8:9] scale_offset
	s_add_co_i32 s5, s5, -1
	s_delay_alu instid0(SALU_CYCLE_1) | instskip(SKIP_3) | instid1(VALU_DEP_2)
	s_cmp_lg_u32 s5, 0
	s_wait_loadcnt 0x0
	v_div_scale_f64 v[6:7], null, v[0:1], v[0:1], v[2:3]
	v_div_scale_f64 v[12:13], vcc_lo, v[2:3], v[0:1], v[2:3]
	v_rcp_f64_e32 v[8:9], v[6:7]
	v_nop
	s_delay_alu instid0(TRANS32_DEP_1) | instskip(NEXT) | instid1(VALU_DEP_1)
	v_fma_f64 v[10:11], -v[6:7], v[8:9], 1.0
	v_fmac_f64_e32 v[8:9], v[8:9], v[10:11]
	s_delay_alu instid0(VALU_DEP_1) | instskip(NEXT) | instid1(VALU_DEP_1)
	v_fma_f64 v[10:11], -v[6:7], v[8:9], 1.0
	v_fmac_f64_e32 v[8:9], v[8:9], v[10:11]
	s_delay_alu instid0(VALU_DEP_1) | instskip(NEXT) | instid1(VALU_DEP_1)
	v_mul_f64_e32 v[10:11], v[12:13], v[8:9]
	v_fma_f64 v[6:7], -v[6:7], v[10:11], v[12:13]
	s_delay_alu instid0(VALU_DEP_1) | instskip(NEXT) | instid1(VALU_DEP_1)
	v_div_fmas_f64 v[6:7], v[6:7], v[8:9], v[10:11]
	v_div_fixup_f64 v[2:3], v[6:7], v[0:1], v[2:3]
	global_store_b64 v4, v[2:3], s[8:9] scale_offset
	s_wait_xcnt 0x0
	v_add_nc_u32_e32 v4, s4, v4
	s_cbranch_scc1 .LBB1_16
.LBB1_17:
	s_endpgm
	.section	.rodata,"a",@progbits
	.p2align	6, 0x0
	.amdhsa_kernel _Z25compute_probs_unitStridesPKdS0_Pdiii
		.amdhsa_group_segment_fixed_size 0
		.amdhsa_private_segment_fixed_size 176
		.amdhsa_kernarg_size 296
		.amdhsa_user_sgpr_count 2
		.amdhsa_user_sgpr_dispatch_ptr 0
		.amdhsa_user_sgpr_queue_ptr 0
		.amdhsa_user_sgpr_kernarg_segment_ptr 1
		.amdhsa_user_sgpr_dispatch_id 0
		.amdhsa_user_sgpr_kernarg_preload_length 0
		.amdhsa_user_sgpr_kernarg_preload_offset 0
		.amdhsa_user_sgpr_private_segment_size 0
		.amdhsa_wavefront_size32 1
		.amdhsa_uses_dynamic_stack 0
		.amdhsa_enable_private_segment 1
		.amdhsa_system_sgpr_workgroup_id_x 1
		.amdhsa_system_sgpr_workgroup_id_y 0
		.amdhsa_system_sgpr_workgroup_id_z 0
		.amdhsa_system_sgpr_workgroup_info 0
		.amdhsa_system_vgpr_workitem_id 0
		.amdhsa_next_free_vgpr 14
		.amdhsa_next_free_sgpr 22
		.amdhsa_named_barrier_count 0
		.amdhsa_reserve_vcc 1
		.amdhsa_float_round_mode_32 0
		.amdhsa_float_round_mode_16_64 0
		.amdhsa_float_denorm_mode_32 3
		.amdhsa_float_denorm_mode_16_64 3
		.amdhsa_fp16_overflow 0
		.amdhsa_memory_ordered 1
		.amdhsa_forward_progress 1
		.amdhsa_inst_pref_size 6
		.amdhsa_round_robin_scheduling 0
		.amdhsa_exception_fp_ieee_invalid_op 0
		.amdhsa_exception_fp_denorm_src 0
		.amdhsa_exception_fp_ieee_div_zero 0
		.amdhsa_exception_fp_ieee_overflow 0
		.amdhsa_exception_fp_ieee_underflow 0
		.amdhsa_exception_fp_ieee_inexact 0
		.amdhsa_exception_int_div_zero 0
	.end_amdhsa_kernel
	.text
.Lfunc_end1:
	.size	_Z25compute_probs_unitStridesPKdS0_Pdiii, .Lfunc_end1-_Z25compute_probs_unitStridesPKdS0_Pdiii
                                        ; -- End function
	.set _Z25compute_probs_unitStridesPKdS0_Pdiii.num_vgpr, 14
	.set _Z25compute_probs_unitStridesPKdS0_Pdiii.num_agpr, 0
	.set _Z25compute_probs_unitStridesPKdS0_Pdiii.numbered_sgpr, 22
	.set _Z25compute_probs_unitStridesPKdS0_Pdiii.num_named_barrier, 0
	.set _Z25compute_probs_unitStridesPKdS0_Pdiii.private_seg_size, 176
	.set _Z25compute_probs_unitStridesPKdS0_Pdiii.uses_vcc, 1
	.set _Z25compute_probs_unitStridesPKdS0_Pdiii.uses_flat_scratch, 0
	.set _Z25compute_probs_unitStridesPKdS0_Pdiii.has_dyn_sized_stack, 0
	.set _Z25compute_probs_unitStridesPKdS0_Pdiii.has_recursion, 0
	.set _Z25compute_probs_unitStridesPKdS0_Pdiii.has_indirect_call, 0
	.section	.AMDGPU.csdata,"",@progbits
; Kernel info:
; codeLenInByte = 688
; TotalNumSgprs: 24
; NumVgprs: 14
; ScratchSize: 176
; MemoryBound: 0
; FloatMode: 240
; IeeeMode: 1
; LDSByteSize: 0 bytes/workgroup (compile time only)
; SGPRBlocks: 0
; VGPRBlocks: 0
; NumSGPRsForWavesPerEU: 24
; NumVGPRsForWavesPerEU: 14
; NamedBarCnt: 0
; Occupancy: 16
; WaveLimiterHint : 0
; COMPUTE_PGM_RSRC2:SCRATCH_EN: 1
; COMPUTE_PGM_RSRC2:USER_SGPR: 2
; COMPUTE_PGM_RSRC2:TRAP_HANDLER: 0
; COMPUTE_PGM_RSRC2:TGID_X_EN: 1
; COMPUTE_PGM_RSRC2:TGID_Y_EN: 0
; COMPUTE_PGM_RSRC2:TGID_Z_EN: 0
; COMPUTE_PGM_RSRC2:TIDIG_COMP_CNT: 0
	.text
	.protected	_Z35compute_probs_unitStrides_sharedMemPKdS0_Pdiii ; -- Begin function _Z35compute_probs_unitStrides_sharedMemPKdS0_Pdiii
	.globl	_Z35compute_probs_unitStrides_sharedMemPKdS0_Pdiii
	.p2align	8
	.type	_Z35compute_probs_unitStrides_sharedMemPKdS0_Pdiii,@function
_Z35compute_probs_unitStrides_sharedMemPKdS0_Pdiii: ; @_Z35compute_probs_unitStrides_sharedMemPKdS0_Pdiii
; %bb.0:
	s_clause 0x1
	s_load_b32 s2, s[0:1], 0x34
	s_load_b96 s[8:10], s[0:1], 0x18
	s_bfe_u32 s3, ttmp6, 0x4000c
	s_and_b32 s4, ttmp6, 15
	s_add_co_i32 s3, s3, 1
	s_getreg_b32 s5, hwreg(HW_REG_IB_STS2, 6, 4)
	s_mul_i32 s3, ttmp9, s3
	s_delay_alu instid0(SALU_CYCLE_1) | instskip(SKIP_4) | instid1(SALU_CYCLE_1)
	s_add_co_i32 s4, s4, s3
	s_wait_kmcnt 0x0
	s_and_b32 s11, s2, 0xffff
	s_cmp_eq_u32 s5, 0
	s_cselect_b32 s2, ttmp9, s4
	v_mad_u32 v4, s2, s11, v0
	s_mov_b32 s2, exec_lo
	s_delay_alu instid0(VALU_DEP_1)
	v_cmpx_gt_i32_e64 s8, v4
	s_cbranch_execz .LBB2_17
; %bb.1:
	v_lshl_add_u32 v5, v0, 3, 0
	s_cmp_gt_i32 s9, 0
	s_cselect_b32 s16, -1, 0
	s_cmp_lt_i32 s9, 1
	s_cbranch_scc1 .LBB2_4
; %bb.2:
	v_mov_b64_e32 v[2:3], 0
	v_mov_b32_e32 v1, v5
	s_lshl_b32 s2, s11, 3
	s_mov_b32 s3, s9
.LBB2_3:                                ; =>This Inner Loop Header: Depth=1
	ds_store_b64 v1, v[2:3]
	v_add_nc_u32_e32 v1, s2, v1
	s_add_co_i32 s3, s3, -1
	s_delay_alu instid0(SALU_CYCLE_1)
	s_cmp_eq_u32 s3, 0
	s_cbranch_scc0 .LBB2_3
.LBB2_4:
	v_cndmask_b32_e64 v2, 0, 1, s16
	s_cmp_lt_i32 s10, 1
	s_cbranch_scc1 .LBB2_13
; %bb.5:
	s_load_b128 s[4:7], s[0:1], 0x0
	v_lshlrev_b32_e32 v0, 3, v0
	s_mul_i32 s2, s9, s11
	s_add_co_i32 s17, s9, -1
	s_lshl_b32 s3, s2, 3
	s_sub_co_i32 s18, s2, s11
	v_add3_u32 v3, 0, s3, v0
	s_mov_b32 s3, 0
	s_cmp_gt_i32 s9, 1
	s_mov_b32 s2, s10
	s_cselect_b32 s19, -1, 0
	v_lshl_add_u32 v6, s18, 3, v3
	s_lshl_b32 s20, s11, 3
	s_lshl_b64 s[12:13], s[2:3], 3
	s_branch .LBB2_7
.LBB2_6:                                ;   in Loop: Header=BB2_7 Depth=1
	s_delay_alu instid0(VALU_DEP_1)
	v_lshl_add_u32 v7, v0, 3, v5
	s_add_co_i32 s3, s3, 1
	s_add_nc_u64 s[6:7], s[6:7], 8
	s_cmp_eq_u32 s3, s10
	ds_load_b64 v[0:1], v7
	s_wait_dscnt 0x0
	v_add_f64_e32 v[0:1], 1.0, v[0:1]
	ds_store_b64 v7, v[0:1]
	s_cbranch_scc1 .LBB2_13
.LBB2_7:                                ; =>This Loop Header: Depth=1
                                        ;     Child Loop BB2_8 Depth 2
                                        ;     Child Loop BB2_11 Depth 2
	v_dual_mov_b32 v0, v4 :: v_dual_mov_b32 v1, v3
	s_and_not1_b32 vcc_lo, exec_lo, s16
	s_wait_kmcnt 0x0
	s_mov_b64 s[14:15], s[6:7]
	s_mov_b32 s2, s9
	s_cbranch_vccnz .LBB2_9
.LBB2_8:                                ;   Parent Loop BB2_7 Depth=1
                                        ; =>  This Inner Loop Header: Depth=2
	global_load_b64 v[8:9], v0, s[4:5] scale_offset
	s_load_b64 s[22:23], s[14:15], 0x0
	v_add_nc_u32_e32 v0, s8, v0
	s_add_co_i32 s2, s2, -1
	s_wait_xcnt 0x0
	s_add_nc_u64 s[14:15], s[14:15], s[12:13]
	s_cmp_lg_u32 s2, 0
	s_wait_loadcnt 0x0
	s_wait_kmcnt 0x0
	v_add_f64_e32 v[8:9], s[22:23], v[8:9]
	ds_store_b64 v1, v[8:9]
	v_add_nc_u32_e32 v1, s20, v1
	s_cbranch_scc1 .LBB2_8
.LBB2_9:                                ;   in Loop: Header=BB2_7 Depth=1
	v_mov_b32_e32 v0, s18
	s_and_not1_b32 vcc_lo, exec_lo, s19
	s_cbranch_vccnz .LBB2_6
; %bb.10:                               ;   in Loop: Header=BB2_7 Depth=1
	ds_load_b64 v[0:1], v6
	v_dual_mov_b32 v7, s17 :: v_dual_mov_b32 v8, v3
	s_mov_b32 s2, 0
.LBB2_11:                               ;   Parent Loop BB2_7 Depth=1
                                        ; =>  This Inner Loop Header: Depth=2
	ds_load_b64 v[10:11], v8
	s_wait_dscnt 0x0
	v_cmp_gt_f64_e32 vcc_lo, v[10:11], v[0:1]
	v_dual_cndmask_b32 v1, v1, v11 :: v_dual_add_nc_u32 v8, s20, v8
	v_cndmask_b32_e32 v0, v0, v10, vcc_lo
	v_cndmask_b32_e64 v7, v7, s2, vcc_lo
	s_add_co_i32 s2, s2, 1
	s_delay_alu instid0(SALU_CYCLE_1)
	s_cmp_lg_u32 s17, s2
	s_cbranch_scc1 .LBB2_11
; %bb.12:                               ;   in Loop: Header=BB2_7 Depth=1
	s_delay_alu instid0(VALU_DEP_1)
	v_mul_lo_u32 v0, v7, s11
	s_branch .LBB2_6
.LBB2_13:
	s_delay_alu instid0(VALU_DEP_1)
	v_cmp_ne_u32_e32 vcc_lo, 1, v2
	s_cbranch_vccnz .LBB2_17
; %bb.14:
	v_cvt_f64_i32_e32 v[0:1], s10
	s_load_b64 s[0:1], s[0:1], 0x10
	v_mov_b32_e32 v2, v5
	s_lshl_b32 s2, s11, 3
	s_mov_b32 s3, s9
.LBB2_15:                               ; =>This Inner Loop Header: Depth=1
	ds_load_b64 v[6:7], v2
	s_add_co_i32 s3, s3, -1
	s_delay_alu instid0(SALU_CYCLE_1) | instskip(SKIP_3) | instid1(VALU_DEP_2)
	s_cmp_lg_u32 s3, 0
	s_wait_dscnt 0x0
	v_div_scale_f64 v[8:9], null, v[0:1], v[0:1], v[6:7]
	v_div_scale_f64 v[14:15], vcc_lo, v[6:7], v[0:1], v[6:7]
	v_rcp_f64_e32 v[10:11], v[8:9]
	v_nop
	s_delay_alu instid0(TRANS32_DEP_1) | instskip(NEXT) | instid1(VALU_DEP_1)
	v_fma_f64 v[12:13], -v[8:9], v[10:11], 1.0
	v_fmac_f64_e32 v[10:11], v[10:11], v[12:13]
	s_delay_alu instid0(VALU_DEP_1) | instskip(NEXT) | instid1(VALU_DEP_1)
	v_fma_f64 v[12:13], -v[8:9], v[10:11], 1.0
	v_fmac_f64_e32 v[10:11], v[10:11], v[12:13]
	s_delay_alu instid0(VALU_DEP_1) | instskip(NEXT) | instid1(VALU_DEP_1)
	v_mul_f64_e32 v[12:13], v[14:15], v[10:11]
	v_fma_f64 v[8:9], -v[8:9], v[12:13], v[14:15]
	s_delay_alu instid0(VALU_DEP_1) | instskip(NEXT) | instid1(VALU_DEP_1)
	v_div_fmas_f64 v[8:9], v[8:9], v[10:11], v[12:13]
	v_div_fixup_f64 v[6:7], v[8:9], v[0:1], v[6:7]
	ds_store_b64 v2, v[6:7]
	v_add_nc_u32_e32 v2, s2, v2
	s_cbranch_scc1 .LBB2_15
.LBB2_16:                               ; =>This Inner Loop Header: Depth=1
	ds_load_b64 v[0:1], v5
	v_add_nc_u32_e32 v5, s2, v5
	s_add_co_i32 s9, s9, -1
	s_delay_alu instid0(SALU_CYCLE_1)
	s_cmp_lg_u32 s9, 0
	s_wait_dscnt 0x0
	s_wait_kmcnt 0x0
	global_store_b64 v4, v[0:1], s[0:1] scale_offset
	s_wait_xcnt 0x0
	v_add_nc_u32_e32 v4, s8, v4
	s_cbranch_scc1 .LBB2_16
.LBB2_17:
	s_endpgm
	.section	.rodata,"a",@progbits
	.p2align	6, 0x0
	.amdhsa_kernel _Z35compute_probs_unitStrides_sharedMemPKdS0_Pdiii
		.amdhsa_group_segment_fixed_size 0
		.amdhsa_private_segment_fixed_size 0
		.amdhsa_kernarg_size 296
		.amdhsa_user_sgpr_count 2
		.amdhsa_user_sgpr_dispatch_ptr 0
		.amdhsa_user_sgpr_queue_ptr 0
		.amdhsa_user_sgpr_kernarg_segment_ptr 1
		.amdhsa_user_sgpr_dispatch_id 0
		.amdhsa_user_sgpr_kernarg_preload_length 0
		.amdhsa_user_sgpr_kernarg_preload_offset 0
		.amdhsa_user_sgpr_private_segment_size 0
		.amdhsa_wavefront_size32 1
		.amdhsa_uses_dynamic_stack 0
		.amdhsa_enable_private_segment 0
		.amdhsa_system_sgpr_workgroup_id_x 1
		.amdhsa_system_sgpr_workgroup_id_y 0
		.amdhsa_system_sgpr_workgroup_id_z 0
		.amdhsa_system_sgpr_workgroup_info 0
		.amdhsa_system_vgpr_workitem_id 0
		.amdhsa_next_free_vgpr 16
		.amdhsa_next_free_sgpr 24
		.amdhsa_named_barrier_count 0
		.amdhsa_reserve_vcc 1
		.amdhsa_float_round_mode_32 0
		.amdhsa_float_round_mode_16_64 0
		.amdhsa_float_denorm_mode_32 3
		.amdhsa_float_denorm_mode_16_64 3
		.amdhsa_fp16_overflow 0
		.amdhsa_memory_ordered 1
		.amdhsa_forward_progress 1
		.amdhsa_inst_pref_size 6
		.amdhsa_round_robin_scheduling 0
		.amdhsa_exception_fp_ieee_invalid_op 0
		.amdhsa_exception_fp_denorm_src 0
		.amdhsa_exception_fp_ieee_div_zero 0
		.amdhsa_exception_fp_ieee_overflow 0
		.amdhsa_exception_fp_ieee_underflow 0
		.amdhsa_exception_fp_ieee_inexact 0
		.amdhsa_exception_int_div_zero 0
	.end_amdhsa_kernel
	.text
.Lfunc_end2:
	.size	_Z35compute_probs_unitStrides_sharedMemPKdS0_Pdiii, .Lfunc_end2-_Z35compute_probs_unitStrides_sharedMemPKdS0_Pdiii
                                        ; -- End function
	.set _Z35compute_probs_unitStrides_sharedMemPKdS0_Pdiii.num_vgpr, 16
	.set _Z35compute_probs_unitStrides_sharedMemPKdS0_Pdiii.num_agpr, 0
	.set _Z35compute_probs_unitStrides_sharedMemPKdS0_Pdiii.numbered_sgpr, 24
	.set _Z35compute_probs_unitStrides_sharedMemPKdS0_Pdiii.num_named_barrier, 0
	.set _Z35compute_probs_unitStrides_sharedMemPKdS0_Pdiii.private_seg_size, 0
	.set _Z35compute_probs_unitStrides_sharedMemPKdS0_Pdiii.uses_vcc, 1
	.set _Z35compute_probs_unitStrides_sharedMemPKdS0_Pdiii.uses_flat_scratch, 0
	.set _Z35compute_probs_unitStrides_sharedMemPKdS0_Pdiii.has_dyn_sized_stack, 0
	.set _Z35compute_probs_unitStrides_sharedMemPKdS0_Pdiii.has_recursion, 0
	.set _Z35compute_probs_unitStrides_sharedMemPKdS0_Pdiii.has_indirect_call, 0
	.section	.AMDGPU.csdata,"",@progbits
; Kernel info:
; codeLenInByte = 732
; TotalNumSgprs: 26
; NumVgprs: 16
; ScratchSize: 0
; MemoryBound: 0
; FloatMode: 240
; IeeeMode: 1
; LDSByteSize: 0 bytes/workgroup (compile time only)
; SGPRBlocks: 0
; VGPRBlocks: 0
; NumSGPRsForWavesPerEU: 26
; NumVGPRsForWavesPerEU: 16
; NamedBarCnt: 0
; Occupancy: 16
; WaveLimiterHint : 0
; COMPUTE_PGM_RSRC2:SCRATCH_EN: 0
; COMPUTE_PGM_RSRC2:USER_SGPR: 2
; COMPUTE_PGM_RSRC2:TRAP_HANDLER: 0
; COMPUTE_PGM_RSRC2:TGID_X_EN: 1
; COMPUTE_PGM_RSRC2:TGID_Y_EN: 0
; COMPUTE_PGM_RSRC2:TGID_Z_EN: 0
; COMPUTE_PGM_RSRC2:TIDIG_COMP_CNT: 0
	.text
	.p2alignl 7, 3214868480
	.fill 96, 4, 3214868480
	.section	.AMDGPU.gpr_maximums,"",@progbits
	.set amdgpu.max_num_vgpr, 0
	.set amdgpu.max_num_agpr, 0
	.set amdgpu.max_num_sgpr, 0
	.text
	.type	__hip_cuid_a16631ce9a4675e9,@object ; @__hip_cuid_a16631ce9a4675e9
	.section	.bss,"aw",@nobits
	.globl	__hip_cuid_a16631ce9a4675e9
__hip_cuid_a16631ce9a4675e9:
	.byte	0                               ; 0x0
	.size	__hip_cuid_a16631ce9a4675e9, 1

	.ident	"AMD clang version 22.0.0git (https://github.com/RadeonOpenCompute/llvm-project roc-7.2.4 26084 f58b06dce1f9c15707c5f808fd002e18c2accf7e)"
	.section	".note.GNU-stack","",@progbits
	.addrsig
	.addrsig_sym __hip_cuid_a16631ce9a4675e9
	.amdgpu_metadata
---
amdhsa.kernels:
  - .args:
      - .actual_access:  read_only
        .address_space:  global
        .offset:         0
        .size:           8
        .value_kind:     global_buffer
      - .actual_access:  read_only
        .address_space:  global
        .offset:         8
        .size:           8
        .value_kind:     global_buffer
      - .address_space:  global
        .offset:         16
        .size:           8
        .value_kind:     global_buffer
      - .offset:         24
        .size:           4
        .value_kind:     by_value
      - .offset:         28
        .size:           4
        .value_kind:     by_value
      - .offset:         32
        .size:           4
        .value_kind:     by_value
      - .offset:         40
        .size:           4
        .value_kind:     hidden_block_count_x
      - .offset:         44
        .size:           4
        .value_kind:     hidden_block_count_y
      - .offset:         48
        .size:           4
        .value_kind:     hidden_block_count_z
      - .offset:         52
        .size:           2
        .value_kind:     hidden_group_size_x
      - .offset:         54
        .size:           2
        .value_kind:     hidden_group_size_y
      - .offset:         56
        .size:           2
        .value_kind:     hidden_group_size_z
      - .offset:         58
        .size:           2
        .value_kind:     hidden_remainder_x
      - .offset:         60
        .size:           2
        .value_kind:     hidden_remainder_y
      - .offset:         62
        .size:           2
        .value_kind:     hidden_remainder_z
      - .offset:         80
        .size:           8
        .value_kind:     hidden_global_offset_x
      - .offset:         88
        .size:           8
        .value_kind:     hidden_global_offset_y
      - .offset:         96
        .size:           8
        .value_kind:     hidden_global_offset_z
      - .offset:         104
        .size:           2
        .value_kind:     hidden_grid_dims
    .group_segment_fixed_size: 0
    .kernarg_segment_align: 8
    .kernarg_segment_size: 296
    .language:       OpenCL C
    .language_version:
      - 2
      - 0
    .max_flat_workgroup_size: 1024
    .name:           _Z13compute_probsPKdS0_Pdiii
    .private_segment_fixed_size: 176
    .sgpr_count:     22
    .sgpr_spill_count: 0
    .symbol:         _Z13compute_probsPKdS0_Pdiii.kd
    .uniform_work_group_size: 1
    .uses_dynamic_stack: false
    .vgpr_count:     14
    .vgpr_spill_count: 0
    .wavefront_size: 32
  - .args:
      - .actual_access:  read_only
        .address_space:  global
        .offset:         0
        .size:           8
        .value_kind:     global_buffer
      - .actual_access:  read_only
        .address_space:  global
        .offset:         8
        .size:           8
        .value_kind:     global_buffer
      - .address_space:  global
        .offset:         16
        .size:           8
        .value_kind:     global_buffer
      - .offset:         24
        .size:           4
        .value_kind:     by_value
      - .offset:         28
        .size:           4
        .value_kind:     by_value
      - .offset:         32
        .size:           4
        .value_kind:     by_value
      - .offset:         40
        .size:           4
        .value_kind:     hidden_block_count_x
      - .offset:         44
        .size:           4
        .value_kind:     hidden_block_count_y
      - .offset:         48
        .size:           4
        .value_kind:     hidden_block_count_z
      - .offset:         52
        .size:           2
        .value_kind:     hidden_group_size_x
      - .offset:         54
        .size:           2
        .value_kind:     hidden_group_size_y
      - .offset:         56
        .size:           2
        .value_kind:     hidden_group_size_z
      - .offset:         58
        .size:           2
        .value_kind:     hidden_remainder_x
      - .offset:         60
        .size:           2
        .value_kind:     hidden_remainder_y
      - .offset:         62
        .size:           2
        .value_kind:     hidden_remainder_z
      - .offset:         80
        .size:           8
        .value_kind:     hidden_global_offset_x
      - .offset:         88
        .size:           8
        .value_kind:     hidden_global_offset_y
      - .offset:         96
        .size:           8
        .value_kind:     hidden_global_offset_z
      - .offset:         104
        .size:           2
        .value_kind:     hidden_grid_dims
    .group_segment_fixed_size: 0
    .kernarg_segment_align: 8
    .kernarg_segment_size: 296
    .language:       OpenCL C
    .language_version:
      - 2
      - 0
    .max_flat_workgroup_size: 1024
    .name:           _Z25compute_probs_unitStridesPKdS0_Pdiii
    .private_segment_fixed_size: 176
    .sgpr_count:     24
    .sgpr_spill_count: 0
    .symbol:         _Z25compute_probs_unitStridesPKdS0_Pdiii.kd
    .uniform_work_group_size: 1
    .uses_dynamic_stack: false
    .vgpr_count:     14
    .vgpr_spill_count: 0
    .wavefront_size: 32
  - .args:
      - .actual_access:  read_only
        .address_space:  global
        .offset:         0
        .size:           8
        .value_kind:     global_buffer
      - .actual_access:  read_only
        .address_space:  global
        .offset:         8
        .size:           8
        .value_kind:     global_buffer
      - .actual_access:  write_only
        .address_space:  global
        .offset:         16
        .size:           8
        .value_kind:     global_buffer
      - .offset:         24
        .size:           4
        .value_kind:     by_value
      - .offset:         28
        .size:           4
        .value_kind:     by_value
      - .offset:         32
        .size:           4
        .value_kind:     by_value
      - .offset:         40
        .size:           4
        .value_kind:     hidden_block_count_x
      - .offset:         44
        .size:           4
        .value_kind:     hidden_block_count_y
      - .offset:         48
        .size:           4
        .value_kind:     hidden_block_count_z
      - .offset:         52
        .size:           2
        .value_kind:     hidden_group_size_x
      - .offset:         54
        .size:           2
        .value_kind:     hidden_group_size_y
      - .offset:         56
        .size:           2
        .value_kind:     hidden_group_size_z
      - .offset:         58
        .size:           2
        .value_kind:     hidden_remainder_x
      - .offset:         60
        .size:           2
        .value_kind:     hidden_remainder_y
      - .offset:         62
        .size:           2
        .value_kind:     hidden_remainder_z
      - .offset:         80
        .size:           8
        .value_kind:     hidden_global_offset_x
      - .offset:         88
        .size:           8
        .value_kind:     hidden_global_offset_y
      - .offset:         96
        .size:           8
        .value_kind:     hidden_global_offset_z
      - .offset:         104
        .size:           2
        .value_kind:     hidden_grid_dims
      - .offset:         160
        .size:           4
        .value_kind:     hidden_dynamic_lds_size
    .group_segment_fixed_size: 0
    .kernarg_segment_align: 8
    .kernarg_segment_size: 296
    .language:       OpenCL C
    .language_version:
      - 2
      - 0
    .max_flat_workgroup_size: 1024
    .name:           _Z35compute_probs_unitStrides_sharedMemPKdS0_Pdiii
    .private_segment_fixed_size: 0
    .sgpr_count:     26
    .sgpr_spill_count: 0
    .symbol:         _Z35compute_probs_unitStrides_sharedMemPKdS0_Pdiii.kd
    .uniform_work_group_size: 1
    .uses_dynamic_stack: false
    .vgpr_count:     16
    .vgpr_spill_count: 0
    .wavefront_size: 32
amdhsa.target:   amdgcn-amd-amdhsa--gfx1250
amdhsa.version:
  - 1
  - 2
...

	.end_amdgpu_metadata
